;; amdgpu-corpus repo=ROCm/rocFFT kind=compiled arch=gfx1201 opt=O3
	.text
	.amdgcn_target "amdgcn-amd-amdhsa--gfx1201"
	.amdhsa_code_object_version 6
	.protected	fft_rtc_fwd_len2592_factors_6_6_6_6_2_wgs_216_tpt_216_halfLds_half_op_CI_CI_unitstride_sbrr_C2R_dirReg ; -- Begin function fft_rtc_fwd_len2592_factors_6_6_6_6_2_wgs_216_tpt_216_halfLds_half_op_CI_CI_unitstride_sbrr_C2R_dirReg
	.globl	fft_rtc_fwd_len2592_factors_6_6_6_6_2_wgs_216_tpt_216_halfLds_half_op_CI_CI_unitstride_sbrr_C2R_dirReg
	.p2align	8
	.type	fft_rtc_fwd_len2592_factors_6_6_6_6_2_wgs_216_tpt_216_halfLds_half_op_CI_CI_unitstride_sbrr_C2R_dirReg,@function
fft_rtc_fwd_len2592_factors_6_6_6_6_2_wgs_216_tpt_216_halfLds_half_op_CI_CI_unitstride_sbrr_C2R_dirReg: ; @fft_rtc_fwd_len2592_factors_6_6_6_6_2_wgs_216_tpt_216_halfLds_half_op_CI_CI_unitstride_sbrr_C2R_dirReg
; %bb.0:
	s_clause 0x2
	s_load_b128 s[8:11], s[0:1], 0x0
	s_load_b128 s[4:7], s[0:1], 0x58
	;; [unrolled: 1-line block ×3, first 2 shown]
	v_mul_u32_u24_e32 v1, 0x130, v0
	v_mov_b32_e32 v3, 0
	v_mov_b32_e32 v7, 0
	;; [unrolled: 1-line block ×3, first 2 shown]
	s_delay_alu instid0(VALU_DEP_4) | instskip(NEXT) | instid1(VALU_DEP_1)
	v_lshrrev_b32_e32 v1, 16, v1
	v_dual_mov_b32 v10, v3 :: v_dual_add_nc_u32 v9, ttmp9, v1
	s_wait_kmcnt 0x0
	v_cmp_lt_u64_e64 s2, s[10:11], 2
	s_delay_alu instid0(VALU_DEP_1)
	s_and_b32 vcc_lo, exec_lo, s2
	s_cbranch_vccnz .LBB0_8
; %bb.1:
	s_load_b64 s[2:3], s[0:1], 0x10
	v_mov_b32_e32 v7, 0
	v_mov_b32_e32 v8, 0
	s_delay_alu instid0(VALU_DEP_2)
	v_mov_b32_e32 v1, v7
	s_add_nc_u64 s[16:17], s[14:15], 8
	s_add_nc_u64 s[18:19], s[12:13], 8
	s_mov_b64 s[20:21], 1
	v_mov_b32_e32 v2, v8
	s_wait_kmcnt 0x0
	s_add_nc_u64 s[22:23], s[2:3], 8
	s_mov_b32 s3, 0
.LBB0_2:                                ; =>This Inner Loop Header: Depth=1
	s_load_b64 s[24:25], s[22:23], 0x0
                                        ; implicit-def: $vgpr5_vgpr6
	s_mov_b32 s2, exec_lo
	s_wait_kmcnt 0x0
	v_or_b32_e32 v4, s25, v10
	s_delay_alu instid0(VALU_DEP_1)
	v_cmpx_ne_u64_e32 0, v[3:4]
	s_wait_alu 0xfffe
	s_xor_b32 s26, exec_lo, s2
	s_cbranch_execz .LBB0_4
; %bb.3:                                ;   in Loop: Header=BB0_2 Depth=1
	s_cvt_f32_u32 s2, s24
	s_cvt_f32_u32 s27, s25
	s_sub_nc_u64 s[30:31], 0, s[24:25]
	s_wait_alu 0xfffe
	s_delay_alu instid0(SALU_CYCLE_1) | instskip(SKIP_1) | instid1(SALU_CYCLE_2)
	s_fmamk_f32 s2, s27, 0x4f800000, s2
	s_wait_alu 0xfffe
	v_s_rcp_f32 s2, s2
	s_delay_alu instid0(TRANS32_DEP_1) | instskip(SKIP_1) | instid1(SALU_CYCLE_2)
	s_mul_f32 s2, s2, 0x5f7ffffc
	s_wait_alu 0xfffe
	s_mul_f32 s27, s2, 0x2f800000
	s_wait_alu 0xfffe
	s_delay_alu instid0(SALU_CYCLE_2) | instskip(SKIP_1) | instid1(SALU_CYCLE_2)
	s_trunc_f32 s27, s27
	s_wait_alu 0xfffe
	s_fmamk_f32 s2, s27, 0xcf800000, s2
	s_cvt_u32_f32 s29, s27
	s_wait_alu 0xfffe
	s_delay_alu instid0(SALU_CYCLE_1) | instskip(SKIP_1) | instid1(SALU_CYCLE_2)
	s_cvt_u32_f32 s28, s2
	s_wait_alu 0xfffe
	s_mul_u64 s[34:35], s[30:31], s[28:29]
	s_wait_alu 0xfffe
	s_mul_hi_u32 s37, s28, s35
	s_mul_i32 s36, s28, s35
	s_mul_hi_u32 s2, s28, s34
	s_mul_i32 s33, s29, s34
	s_wait_alu 0xfffe
	s_add_nc_u64 s[36:37], s[2:3], s[36:37]
	s_mul_hi_u32 s27, s29, s34
	s_mul_hi_u32 s38, s29, s35
	s_add_co_u32 s2, s36, s33
	s_wait_alu 0xfffe
	s_add_co_ci_u32 s2, s37, s27
	s_mul_i32 s34, s29, s35
	s_add_co_ci_u32 s35, s38, 0
	s_wait_alu 0xfffe
	s_add_nc_u64 s[34:35], s[2:3], s[34:35]
	s_wait_alu 0xfffe
	v_add_co_u32 v4, s2, s28, s34
	s_delay_alu instid0(VALU_DEP_1) | instskip(SKIP_1) | instid1(VALU_DEP_1)
	s_cmp_lg_u32 s2, 0
	s_add_co_ci_u32 s29, s29, s35
	v_readfirstlane_b32 s28, v4
	s_wait_alu 0xfffe
	s_delay_alu instid0(VALU_DEP_1)
	s_mul_u64 s[30:31], s[30:31], s[28:29]
	s_wait_alu 0xfffe
	s_mul_hi_u32 s35, s28, s31
	s_mul_i32 s34, s28, s31
	s_mul_hi_u32 s2, s28, s30
	s_mul_i32 s33, s29, s30
	s_wait_alu 0xfffe
	s_add_nc_u64 s[34:35], s[2:3], s[34:35]
	s_mul_hi_u32 s27, s29, s30
	s_mul_hi_u32 s28, s29, s31
	s_wait_alu 0xfffe
	s_add_co_u32 s2, s34, s33
	s_add_co_ci_u32 s2, s35, s27
	s_mul_i32 s30, s29, s31
	s_add_co_ci_u32 s31, s28, 0
	s_wait_alu 0xfffe
	s_add_nc_u64 s[30:31], s[2:3], s[30:31]
	s_wait_alu 0xfffe
	v_add_co_u32 v6, s2, v4, s30
	s_delay_alu instid0(VALU_DEP_1) | instskip(SKIP_1) | instid1(VALU_DEP_1)
	s_cmp_lg_u32 s2, 0
	s_add_co_ci_u32 s2, s29, s31
	v_mul_hi_u32 v15, v9, v6
	s_wait_alu 0xfffe
	v_mad_co_u64_u32 v[4:5], null, v9, s2, 0
	v_mad_co_u64_u32 v[11:12], null, v10, v6, 0
	;; [unrolled: 1-line block ×3, first 2 shown]
	s_delay_alu instid0(VALU_DEP_3) | instskip(SKIP_1) | instid1(VALU_DEP_4)
	v_add_co_u32 v4, vcc_lo, v15, v4
	s_wait_alu 0xfffd
	v_add_co_ci_u32_e32 v5, vcc_lo, 0, v5, vcc_lo
	s_delay_alu instid0(VALU_DEP_2) | instskip(SKIP_1) | instid1(VALU_DEP_2)
	v_add_co_u32 v4, vcc_lo, v4, v11
	s_wait_alu 0xfffd
	v_add_co_ci_u32_e32 v4, vcc_lo, v5, v12, vcc_lo
	s_wait_alu 0xfffd
	v_add_co_ci_u32_e32 v5, vcc_lo, 0, v14, vcc_lo
	s_delay_alu instid0(VALU_DEP_2) | instskip(SKIP_1) | instid1(VALU_DEP_2)
	v_add_co_u32 v11, vcc_lo, v4, v13
	s_wait_alu 0xfffd
	v_add_co_ci_u32_e32 v6, vcc_lo, 0, v5, vcc_lo
	s_delay_alu instid0(VALU_DEP_2) | instskip(SKIP_1) | instid1(VALU_DEP_3)
	v_mul_lo_u32 v12, s25, v11
	v_mad_co_u64_u32 v[4:5], null, s24, v11, 0
	v_mul_lo_u32 v13, s24, v6
	s_delay_alu instid0(VALU_DEP_2) | instskip(NEXT) | instid1(VALU_DEP_2)
	v_sub_co_u32 v4, vcc_lo, v9, v4
	v_add3_u32 v5, v5, v13, v12
	s_delay_alu instid0(VALU_DEP_1) | instskip(SKIP_1) | instid1(VALU_DEP_1)
	v_sub_nc_u32_e32 v12, v10, v5
	s_wait_alu 0xfffd
	v_subrev_co_ci_u32_e64 v12, s2, s25, v12, vcc_lo
	v_add_co_u32 v13, s2, v11, 2
	s_wait_alu 0xf1ff
	v_add_co_ci_u32_e64 v14, s2, 0, v6, s2
	v_sub_co_u32 v15, s2, v4, s24
	v_sub_co_ci_u32_e32 v5, vcc_lo, v10, v5, vcc_lo
	s_wait_alu 0xf1ff
	v_subrev_co_ci_u32_e64 v12, s2, 0, v12, s2
	s_delay_alu instid0(VALU_DEP_3) | instskip(NEXT) | instid1(VALU_DEP_3)
	v_cmp_le_u32_e32 vcc_lo, s24, v15
	v_cmp_eq_u32_e64 s2, s25, v5
	s_wait_alu 0xfffd
	v_cndmask_b32_e64 v15, 0, -1, vcc_lo
	v_cmp_le_u32_e32 vcc_lo, s25, v12
	s_wait_alu 0xfffd
	v_cndmask_b32_e64 v16, 0, -1, vcc_lo
	v_cmp_le_u32_e32 vcc_lo, s24, v4
	;; [unrolled: 3-line block ×3, first 2 shown]
	s_wait_alu 0xfffd
	v_cndmask_b32_e64 v17, 0, -1, vcc_lo
	v_cmp_eq_u32_e32 vcc_lo, s25, v12
	s_wait_alu 0xf1ff
	s_delay_alu instid0(VALU_DEP_2)
	v_cndmask_b32_e64 v4, v17, v4, s2
	s_wait_alu 0xfffd
	v_cndmask_b32_e32 v12, v16, v15, vcc_lo
	v_add_co_u32 v15, vcc_lo, v11, 1
	s_wait_alu 0xfffd
	v_add_co_ci_u32_e32 v16, vcc_lo, 0, v6, vcc_lo
	s_delay_alu instid0(VALU_DEP_3) | instskip(SKIP_1) | instid1(VALU_DEP_2)
	v_cmp_ne_u32_e32 vcc_lo, 0, v12
	s_wait_alu 0xfffd
	v_dual_cndmask_b32 v5, v16, v14 :: v_dual_cndmask_b32 v12, v15, v13
	v_cmp_ne_u32_e32 vcc_lo, 0, v4
	s_wait_alu 0xfffd
	s_delay_alu instid0(VALU_DEP_2)
	v_dual_cndmask_b32 v6, v6, v5 :: v_dual_cndmask_b32 v5, v11, v12
.LBB0_4:                                ;   in Loop: Header=BB0_2 Depth=1
	s_wait_alu 0xfffe
	s_and_not1_saveexec_b32 s2, s26
	s_cbranch_execz .LBB0_6
; %bb.5:                                ;   in Loop: Header=BB0_2 Depth=1
	v_cvt_f32_u32_e32 v4, s24
	s_sub_co_i32 s26, 0, s24
	s_delay_alu instid0(VALU_DEP_1) | instskip(NEXT) | instid1(TRANS32_DEP_1)
	v_rcp_iflag_f32_e32 v4, v4
	v_mul_f32_e32 v4, 0x4f7ffffe, v4
	s_delay_alu instid0(VALU_DEP_1) | instskip(SKIP_1) | instid1(VALU_DEP_1)
	v_cvt_u32_f32_e32 v4, v4
	s_wait_alu 0xfffe
	v_mul_lo_u32 v5, s26, v4
	s_delay_alu instid0(VALU_DEP_1) | instskip(NEXT) | instid1(VALU_DEP_1)
	v_mul_hi_u32 v5, v4, v5
	v_add_nc_u32_e32 v4, v4, v5
	s_delay_alu instid0(VALU_DEP_1) | instskip(NEXT) | instid1(VALU_DEP_1)
	v_mul_hi_u32 v4, v9, v4
	v_mul_lo_u32 v5, v4, s24
	v_add_nc_u32_e32 v6, 1, v4
	s_delay_alu instid0(VALU_DEP_2) | instskip(NEXT) | instid1(VALU_DEP_1)
	v_sub_nc_u32_e32 v5, v9, v5
	v_subrev_nc_u32_e32 v11, s24, v5
	v_cmp_le_u32_e32 vcc_lo, s24, v5
	s_wait_alu 0xfffd
	s_delay_alu instid0(VALU_DEP_2) | instskip(NEXT) | instid1(VALU_DEP_1)
	v_dual_cndmask_b32 v5, v5, v11 :: v_dual_cndmask_b32 v4, v4, v6
	v_cmp_le_u32_e32 vcc_lo, s24, v5
	s_delay_alu instid0(VALU_DEP_2) | instskip(SKIP_1) | instid1(VALU_DEP_1)
	v_add_nc_u32_e32 v6, 1, v4
	s_wait_alu 0xfffd
	v_dual_cndmask_b32 v5, v4, v6 :: v_dual_mov_b32 v6, v3
.LBB0_6:                                ;   in Loop: Header=BB0_2 Depth=1
	s_wait_alu 0xfffe
	s_or_b32 exec_lo, exec_lo, s2
	s_delay_alu instid0(VALU_DEP_1) | instskip(NEXT) | instid1(VALU_DEP_2)
	v_mul_lo_u32 v4, v6, s24
	v_mul_lo_u32 v13, v5, s25
	s_load_b64 s[26:27], s[18:19], 0x0
	v_mad_co_u64_u32 v[11:12], null, v5, s24, 0
	s_load_b64 s[24:25], s[16:17], 0x0
	s_add_nc_u64 s[20:21], s[20:21], 1
	s_add_nc_u64 s[16:17], s[16:17], 8
	s_wait_alu 0xfffe
	v_cmp_ge_u64_e64 s2, s[20:21], s[10:11]
	s_add_nc_u64 s[18:19], s[18:19], 8
	s_add_nc_u64 s[22:23], s[22:23], 8
	v_add3_u32 v4, v12, v13, v4
	v_sub_co_u32 v9, vcc_lo, v9, v11
	s_wait_alu 0xfffd
	s_delay_alu instid0(VALU_DEP_2) | instskip(SKIP_2) | instid1(VALU_DEP_1)
	v_sub_co_ci_u32_e32 v4, vcc_lo, v10, v4, vcc_lo
	s_and_b32 vcc_lo, exec_lo, s2
	s_wait_kmcnt 0x0
	v_mul_lo_u32 v10, s26, v4
	v_mul_lo_u32 v11, s27, v9
	v_mad_co_u64_u32 v[7:8], null, s26, v9, v[7:8]
	v_mul_lo_u32 v4, s24, v4
	v_mul_lo_u32 v12, s25, v9
	v_mad_co_u64_u32 v[1:2], null, s24, v9, v[1:2]
	s_delay_alu instid0(VALU_DEP_4) | instskip(NEXT) | instid1(VALU_DEP_2)
	v_add3_u32 v8, v11, v8, v10
	v_add3_u32 v2, v12, v2, v4
	s_wait_alu 0xfffe
	s_cbranch_vccnz .LBB0_9
; %bb.7:                                ;   in Loop: Header=BB0_2 Depth=1
	v_dual_mov_b32 v10, v6 :: v_dual_mov_b32 v9, v5
	s_branch .LBB0_2
.LBB0_8:
	v_dual_mov_b32 v1, v7 :: v_dual_mov_b32 v2, v8
	v_dual_mov_b32 v5, v9 :: v_dual_mov_b32 v6, v10
.LBB0_9:
	s_load_b64 s[0:1], s[0:1], 0x28
	v_mul_hi_u32 v4, 0x12f684c, v0
	s_lshl_b64 s[10:11], s[10:11], 3
                                        ; implicit-def: $vgpr3
                                        ; implicit-def: $vgpr9_vgpr10
	s_wait_alu 0xfffe
	s_add_nc_u64 s[2:3], s[14:15], s[10:11]
	s_wait_kmcnt 0x0
	v_cmp_gt_u64_e32 vcc_lo, s[0:1], v[5:6]
	v_cmp_le_u64_e64 s0, s[0:1], v[5:6]
	s_delay_alu instid0(VALU_DEP_1)
	s_and_saveexec_b32 s1, s0
	s_wait_alu 0xfffe
	s_xor_b32 s0, exec_lo, s1
; %bb.10:
	v_mul_u32_u24_e32 v3, 0xd8, v4
	v_mov_b32_e32 v4, 0
                                        ; implicit-def: $vgpr7_vgpr8
	s_delay_alu instid0(VALU_DEP_2) | instskip(NEXT) | instid1(VALU_DEP_2)
	v_sub_nc_u32_e32 v3, v0, v3
	v_mov_b32_e32 v10, v4
                                        ; implicit-def: $vgpr0
	s_delay_alu instid0(VALU_DEP_2)
	v_mov_b32_e32 v9, v3
                                        ; implicit-def: $vgpr4
; %bb.11:
	s_wait_alu 0xfffe
	s_or_saveexec_b32 s1, s0
	s_load_b64 s[2:3], s[2:3], 0x0
	s_xor_b32 exec_lo, exec_lo, s1
	s_cbranch_execz .LBB0_15
; %bb.12:
	s_add_nc_u64 s[10:11], s[12:13], s[10:11]
	v_lshlrev_b64_e32 v[7:8], 2, v[7:8]
	s_load_b64 s[10:11], s[10:11], 0x0
	s_wait_kmcnt 0x0
	v_mul_lo_u32 v3, s11, v5
	v_mul_lo_u32 v11, s10, v6
	v_mad_co_u64_u32 v[9:10], null, s10, v5, 0
	s_delay_alu instid0(VALU_DEP_1) | instskip(SKIP_1) | instid1(VALU_DEP_2)
	v_add3_u32 v10, v10, v11, v3
	v_mul_u32_u24_e32 v3, 0xd8, v4
	v_lshlrev_b64_e32 v[9:10], 2, v[9:10]
	s_delay_alu instid0(VALU_DEP_2) | instskip(NEXT) | instid1(VALU_DEP_1)
	v_sub_nc_u32_e32 v3, v0, v3
	v_lshlrev_b32_e32 v11, 2, v3
	s_delay_alu instid0(VALU_DEP_3) | instskip(SKIP_1) | instid1(VALU_DEP_4)
	v_add_co_u32 v0, s0, s4, v9
	s_wait_alu 0xf1ff
	v_add_co_ci_u32_e64 v4, s0, s5, v10, s0
	s_mov_b32 s4, exec_lo
	s_delay_alu instid0(VALU_DEP_2) | instskip(SKIP_1) | instid1(VALU_DEP_2)
	v_add_co_u32 v7, s0, v0, v7
	s_wait_alu 0xf1ff
	v_add_co_ci_u32_e64 v8, s0, v4, v8, s0
	v_mov_b32_e32 v4, 0
	s_delay_alu instid0(VALU_DEP_3) | instskip(SKIP_1) | instid1(VALU_DEP_3)
	v_add_co_u32 v9, s0, v7, v11
	s_wait_alu 0xf1ff
	v_add_co_ci_u32_e64 v10, s0, 0, v8, s0
	s_clause 0xb
	global_load_b32 v0, v[9:10], off
	global_load_b32 v12, v[9:10], off offset:864
	global_load_b32 v13, v[9:10], off offset:1728
	;; [unrolled: 1-line block ×11, first 2 shown]
	v_dual_mov_b32 v10, v4 :: v_dual_add_nc_u32 v11, 0, v11
	s_delay_alu instid0(VALU_DEP_1)
	v_dual_mov_b32 v9, v3 :: v_dual_add_nc_u32 v24, 0xd00, v11
	v_add_nc_u32_e32 v23, 0x680, v11
	v_add_nc_u32_e32 v25, 0x1400, v11
	;; [unrolled: 1-line block ×4, first 2 shown]
	s_wait_loadcnt 0xa
	ds_store_2addr_b32 v11, v0, v12 offset1:216
	s_wait_loadcnt 0x8
	ds_store_2addr_b32 v23, v13, v14 offset0:16 offset1:232
	s_wait_loadcnt 0x6
	ds_store_2addr_b32 v24, v15, v16 offset0:32 offset1:248
	;; [unrolled: 2-line block ×3, first 2 shown]
	s_wait_loadcnt 0x2
	ds_store_2addr_b32 v26, v19, v20 offset1:216
	s_wait_loadcnt 0x0
	ds_store_2addr_b32 v27, v21, v22 offset0:16 offset1:232
	v_cmpx_eq_u32_e32 0xd7, v3
	s_cbranch_execz .LBB0_14
; %bb.13:
	global_load_b32 v0, v[7:8], off offset:10368
	v_mov_b32_e32 v9, 0xd7
	v_dual_mov_b32 v10, 0 :: v_dual_mov_b32 v3, 0xd7
	s_wait_loadcnt 0x0
	ds_store_b32 v4, v0 offset:10368
.LBB0_14:
	s_wait_alu 0xfffe
	s_or_b32 exec_lo, exec_lo, s4
.LBB0_15:
	s_delay_alu instid0(SALU_CYCLE_1)
	s_or_b32 exec_lo, exec_lo, s1
	v_lshlrev_b32_e32 v4, 2, v3
	global_wb scope:SCOPE_SE
	s_wait_dscnt 0x0
	s_wait_kmcnt 0x0
	s_barrier_signal -1
	s_barrier_wait -1
	global_inv scope:SCOPE_SE
	v_add_nc_u32_e32 v0, 0, v4
	v_sub_nc_u32_e32 v16, 0, v4
	v_lshlrev_b64_e32 v[7:8], 2, v[9:10]
	s_mov_b32 s1, exec_lo
	ds_load_u16 v4, v0
	ds_load_u16 v13, v16 offset:10368
	s_wait_dscnt 0x0
	v_add_f16_e32 v11, v13, v4
	v_sub_f16_e32 v12, v4, v13
	v_cmpx_ne_u32_e32 0, v3
	s_wait_alu 0xfffe
	s_xor_b32 s1, exec_lo, s1
	s_cbranch_execz .LBB0_17
; %bb.16:
	v_add_co_u32 v9, s0, s8, v7
	s_wait_alu 0xf1ff
	v_add_co_ci_u32_e64 v10, s0, s9, v8, s0
	v_add_f16_e32 v12, v13, v4
	v_sub_f16_e32 v4, v4, v13
	global_load_b32 v9, v[9:10], off offset:10344
	ds_load_u16 v10, v16 offset:10370
	ds_load_u16 v11, v0 offset:2
	s_wait_dscnt 0x0
	v_add_f16_e32 v13, v10, v11
	v_sub_f16_e32 v10, v11, v10
	s_wait_loadcnt 0x0
	v_lshrrev_b32_e32 v14, 16, v9
	s_delay_alu instid0(VALU_DEP_1) | instskip(NEXT) | instid1(VALU_DEP_3)
	v_fma_f16 v15, -v4, v14, v12
	v_fma_f16 v17, v13, v14, -v10
	v_fma_f16 v11, v4, v14, v12
	v_fma_f16 v12, v13, v14, v10
	s_delay_alu instid0(VALU_DEP_4) | instskip(NEXT) | instid1(VALU_DEP_4)
	v_fmac_f16_e32 v15, v9, v13
	v_fmac_f16_e32 v17, v4, v9
	s_delay_alu instid0(VALU_DEP_4) | instskip(NEXT) | instid1(VALU_DEP_4)
	v_fma_f16 v11, -v9, v13, v11
	v_fmac_f16_e32 v12, v4, v9
	s_delay_alu instid0(VALU_DEP_3)
	v_pack_b32_f16 v10, v15, v17
	ds_store_b32 v16, v10 offset:10368
.LBB0_17:
	s_wait_alu 0xfffe
	s_and_not1_saveexec_b32 s0, s1
	s_cbranch_execz .LBB0_19
; %bb.18:
	v_mov_b32_e32 v4, 0
	ds_load_b32 v9, v4 offset:5184
	s_wait_dscnt 0x0
	v_pk_mul_f16 v9, 0xc0004000, v9
	ds_store_b32 v4, v9 offset:5184
.LBB0_19:
	s_wait_alu 0xfffe
	s_or_b32 exec_lo, exec_lo, s0
	v_dual_mov_b32 v4, 0 :: v_dual_add_nc_u32 v29, 0xd8, v3
	s_add_nc_u64 s[0:1], s[8:9], 0x2868
	v_perm_b32 v11, v12, v11, 0x5040100
	v_and_b32_e32 v28, 0xff, v3
	s_delay_alu instid0(VALU_DEP_3) | instskip(SKIP_2) | instid1(VALU_DEP_2)
	v_lshlrev_b64_e32 v[9:10], 2, v[3:4]
	v_and_b32_e32 v30, 0xffff, v29
	s_wait_alu 0xfffe
	v_add_co_u32 v13, s0, s0, v9
	s_wait_alu 0xf1ff
	s_delay_alu instid0(VALU_DEP_3)
	v_add_co_ci_u32_e64 v14, s0, s1, v10, s0
	v_add_co_u32 v7, s0, s8, v7
	s_wait_alu 0xf1ff
	v_add_co_ci_u32_e64 v8, s0, s9, v8, s0
	s_clause 0x4
	global_load_b32 v15, v[13:14], off offset:864
	global_load_b32 v17, v[13:14], off offset:1728
	;; [unrolled: 1-line block ×5, first 2 shown]
	ds_store_b32 v0, v11
	ds_load_b32 v11, v0 offset:864
	ds_load_b32 v12, v16 offset:9504
	v_add_co_u32 v9, s0, s8, v9
	s_wait_alu 0xf1ff
	v_add_co_ci_u32_e64 v10, s0, s9, v10, s0
	s_wait_dscnt 0x1
	v_lshrrev_b32_e32 v13, 16, v11
	s_wait_dscnt 0x0
	v_lshrrev_b32_e32 v20, 16, v12
	v_add_f16_e32 v21, v11, v12
	v_sub_f16_e32 v11, v11, v12
	s_delay_alu instid0(VALU_DEP_3) | instskip(SKIP_3) | instid1(VALU_DEP_1)
	v_add_f16_e32 v12, v20, v13
	v_sub_f16_e32 v13, v13, v20
	s_wait_loadcnt 0x4
	v_lshrrev_b32_e32 v22, 16, v15
	v_fma_f16 v20, v11, v22, v21
	s_delay_alu instid0(VALU_DEP_3) | instskip(SKIP_2) | instid1(VALU_DEP_4)
	v_fma_f16 v23, v12, v22, v13
	v_fma_f16 v21, -v11, v22, v21
	v_fma_f16 v13, v12, v22, -v13
	v_fma_f16 v20, -v15, v12, v20
	s_delay_alu instid0(VALU_DEP_4) | instskip(NEXT) | instid1(VALU_DEP_4)
	v_fmac_f16_e32 v23, v11, v15
	v_fmac_f16_e32 v21, v15, v12
	s_delay_alu instid0(VALU_DEP_4) | instskip(NEXT) | instid1(VALU_DEP_3)
	v_fmac_f16_e32 v13, v11, v15
	v_pack_b32_f16 v11, v20, v23
	s_wait_loadcnt 0x3
	v_lshrrev_b32_e32 v20, 16, v17
	s_delay_alu instid0(VALU_DEP_3)
	v_pack_b32_f16 v12, v21, v13
	ds_store_b32 v0, v11 offset:864
	ds_store_b32 v16, v12 offset:9504
	ds_load_b32 v11, v0 offset:1728
	ds_load_b32 v12, v16 offset:8640
	s_wait_dscnt 0x1
	v_lshrrev_b32_e32 v13, 16, v11
	s_wait_dscnt 0x0
	v_lshrrev_b32_e32 v15, 16, v12
	v_add_f16_e32 v21, v11, v12
	v_sub_f16_e32 v11, v11, v12
	s_delay_alu instid0(VALU_DEP_3) | instskip(SKIP_1) | instid1(VALU_DEP_3)
	v_add_f16_e32 v12, v15, v13
	v_sub_f16_e32 v13, v13, v15
	v_fma_f16 v15, v11, v20, v21
	v_fma_f16 v21, -v11, v20, v21
	s_delay_alu instid0(VALU_DEP_3) | instskip(SKIP_1) | instid1(VALU_DEP_4)
	v_fma_f16 v22, v12, v20, v13
	v_fma_f16 v13, v12, v20, -v13
	v_fma_f16 v15, -v17, v12, v15
	s_delay_alu instid0(VALU_DEP_4) | instskip(NEXT) | instid1(VALU_DEP_4)
	v_fmac_f16_e32 v21, v17, v12
	v_fmac_f16_e32 v22, v11, v17
	s_delay_alu instid0(VALU_DEP_4) | instskip(SKIP_2) | instid1(VALU_DEP_3)
	v_fmac_f16_e32 v13, v11, v17
	s_wait_loadcnt 0x2
	v_lshrrev_b32_e32 v17, 16, v18
	v_pack_b32_f16 v11, v15, v22
	s_delay_alu instid0(VALU_DEP_3)
	v_pack_b32_f16 v12, v21, v13
	ds_store_b32 v0, v11 offset:1728
	ds_store_b32 v16, v12 offset:8640
	ds_load_b32 v11, v0 offset:2592
	ds_load_b32 v12, v16 offset:7776
	s_wait_dscnt 0x1
	v_lshrrev_b32_e32 v13, 16, v11
	s_wait_dscnt 0x0
	v_lshrrev_b32_e32 v15, 16, v12
	v_add_f16_e32 v20, v11, v12
	v_sub_f16_e32 v11, v11, v12
	s_delay_alu instid0(VALU_DEP_3) | instskip(SKIP_1) | instid1(VALU_DEP_3)
	v_add_f16_e32 v12, v15, v13
	v_sub_f16_e32 v13, v13, v15
	v_fma_f16 v15, v11, v17, v20
	v_fma_f16 v20, -v11, v17, v20
	s_delay_alu instid0(VALU_DEP_3) | instskip(SKIP_1) | instid1(VALU_DEP_4)
	v_fma_f16 v21, v12, v17, v13
	v_fma_f16 v13, v12, v17, -v13
	v_fma_f16 v15, -v18, v12, v15
	s_delay_alu instid0(VALU_DEP_4) | instskip(SKIP_4) | instid1(VALU_DEP_2)
	v_fmac_f16_e32 v20, v18, v12
	s_wait_loadcnt 0x1
	v_lshrrev_b32_e32 v17, 16, v19
	v_fmac_f16_e32 v21, v11, v18
	v_fmac_f16_e32 v13, v11, v18
	v_pack_b32_f16 v11, v15, v21
	s_delay_alu instid0(VALU_DEP_2)
	v_pack_b32_f16 v12, v20, v13
	ds_store_b32 v0, v11 offset:2592
	ds_store_b32 v16, v12 offset:7776
	ds_load_b32 v11, v0 offset:3456
	ds_load_b32 v12, v16 offset:6912
	s_wait_loadcnt 0x0
	v_lshrrev_b32_e32 v21, 16, v14
	s_wait_dscnt 0x1
	v_lshrrev_b32_e32 v13, 16, v11
	s_wait_dscnt 0x0
	v_lshrrev_b32_e32 v15, 16, v12
	v_add_f16_e32 v18, v11, v12
	v_sub_f16_e32 v11, v11, v12
	s_delay_alu instid0(VALU_DEP_3) | instskip(SKIP_1) | instid1(VALU_DEP_3)
	v_add_f16_e32 v12, v15, v13
	v_sub_f16_e32 v13, v13, v15
	v_fma_f16 v15, v11, v17, v18
	v_fma_f16 v18, -v11, v17, v18
	s_delay_alu instid0(VALU_DEP_3) | instskip(SKIP_1) | instid1(VALU_DEP_4)
	v_fma_f16 v20, v12, v17, v13
	v_fma_f16 v13, v12, v17, -v13
	v_fma_f16 v15, -v19, v12, v15
	s_delay_alu instid0(VALU_DEP_4) | instskip(NEXT) | instid1(VALU_DEP_4)
	v_fmac_f16_e32 v18, v19, v12
	v_fmac_f16_e32 v20, v11, v19
	s_delay_alu instid0(VALU_DEP_4) | instskip(NEXT) | instid1(VALU_DEP_2)
	v_fmac_f16_e32 v13, v11, v19
	v_pack_b32_f16 v11, v15, v20
	s_delay_alu instid0(VALU_DEP_2)
	v_pack_b32_f16 v12, v18, v13
	ds_store_b32 v0, v11 offset:3456
	ds_store_b32 v16, v12 offset:6912
	ds_load_b32 v15, v0 offset:4320
	ds_load_b32 v17, v16 offset:6048
	v_mul_lo_u16 v18, 0xab, v28
	v_add_nc_u32_e32 v11, 0x680, v0
	v_add_nc_u32_e32 v12, 0xd00, v0
	;; [unrolled: 1-line block ×3, first 2 shown]
	s_delay_alu instid0(VALU_DEP_4) | instskip(SKIP_1) | instid1(VALU_DEP_1)
	v_lshrrev_b16 v31, 10, v18
	v_mul_u32_u24_e32 v18, 0xaaab, v30
	v_lshrrev_b32_e32 v32, 18, v18
	s_wait_dscnt 0x1
	v_lshrrev_b32_e32 v19, 16, v15
	s_wait_dscnt 0x0
	v_lshrrev_b32_e32 v20, 16, v17
	v_add_f16_e32 v22, v15, v17
	v_sub_f16_e32 v15, v15, v17
	s_delay_alu instid0(VALU_DEP_3) | instskip(SKIP_1) | instid1(VALU_DEP_3)
	v_add_f16_e32 v17, v20, v19
	v_sub_f16_e32 v19, v19, v20
	v_fma_f16 v20, v15, v21, v22
	v_fma_f16 v22, -v15, v21, v22
	s_delay_alu instid0(VALU_DEP_3) | instskip(SKIP_1) | instid1(VALU_DEP_4)
	v_fma_f16 v23, v17, v21, v19
	v_fma_f16 v19, v17, v21, -v19
	v_fma_f16 v18, -v14, v17, v20
	s_delay_alu instid0(VALU_DEP_4)
	v_fmac_f16_e32 v22, v14, v17
	v_mul_lo_u16 v17, v31, 6
	v_fmac_f16_e32 v23, v15, v14
	v_fmac_f16_e32 v19, v15, v14
	v_mul_lo_u16 v20, v32, 6
	v_add_nc_u32_e32 v15, 0x2180, v0
	v_sub_nc_u16 v26, v3, v17
	v_pack_b32_f16 v18, v18, v23
	v_pack_b32_f16 v19, v22, v19
	v_add_nc_u32_e32 v14, 0x1b00, v0
	v_sub_nc_u16 v33, v29, v20
	ds_store_b32 v0, v18 offset:4320
	ds_store_b32 v16, v19 offset:6048
	global_wb scope:SCOPE_SE
	s_wait_dscnt 0x0
	s_barrier_signal -1
	s_barrier_wait -1
	global_inv scope:SCOPE_SE
	global_wb scope:SCOPE_SE
	s_barrier_signal -1
	s_barrier_wait -1
	global_inv scope:SCOPE_SE
	ds_load_2addr_b32 v[16:17], v0 offset1:216
	ds_load_2addr_b32 v[18:19], v11 offset0:16 offset1:232
	ds_load_2addr_b32 v[20:21], v12 offset0:32 offset1:248
	;; [unrolled: 1-line block ×3, first 2 shown]
	ds_load_2addr_b32 v[24:25], v14 offset1:216
	v_and_b32_e32 v36, 0xff, v26
	ds_load_2addr_b32 v[26:27], v15 offset0:16 offset1:232
	v_and_b32_e32 v37, 0xffff, v33
	v_mad_u32_u24 v33, v3, 20, v0
	global_wb scope:SCOPE_SE
	s_wait_dscnt 0x0
	v_mul_u32_u24_e32 v34, 5, v36
	s_barrier_signal -1
	v_mul_u32_u24_e32 v35, 5, v37
	v_add_nc_u32_e32 v38, 0x1440, v33
	v_add_nc_u32_e32 v39, 0x1448, v33
	v_lshlrev_b32_e32 v34, 2, v34
	v_add_nc_u32_e32 v40, 0x1450, v33
	v_lshlrev_b32_e32 v35, 2, v35
	s_barrier_wait -1
	global_inv scope:SCOPE_SE
	v_lshlrev_b32_e32 v36, 2, v36
	v_lshlrev_b32_e32 v37, 2, v37
	v_pk_add_f16 v41, v16, v20
	v_pk_add_f16 v42, v18, v22
	;; [unrolled: 1-line block ×3, first 2 shown]
	v_pk_add_f16 v20, v20, v24 neg_lo:[0,1] neg_hi:[0,1]
	v_pk_add_f16 v44, v22, v26
	v_pk_add_f16 v45, v17, v21
	v_pk_add_f16 v47, v21, v25
	v_pk_add_f16 v21, v21, v25 neg_lo:[0,1] neg_hi:[0,1]
	v_pk_add_f16 v48, v23, v27
	v_pk_add_f16 v22, v22, v26 neg_lo:[0,1] neg_hi:[0,1]
	v_pk_fma_f16 v16, v43, 0.5, v16 op_sel_hi:[1,0,1] neg_lo:[1,0,0] neg_hi:[1,0,0]
	v_pk_mul_f16 v20, 0x3aee, v20 op_sel_hi:[0,1]
	v_pk_fma_f16 v18, v44, 0.5, v18 op_sel_hi:[1,0,1] neg_lo:[1,0,0] neg_hi:[1,0,0]
	v_pk_add_f16 v46, v19, v23
	v_pk_add_f16 v23, v23, v27 neg_lo:[0,1] neg_hi:[0,1]
	v_pk_add_f16 v24, v41, v24
	v_pk_add_f16 v26, v42, v26
	v_pk_fma_f16 v17, v47, 0.5, v17 op_sel_hi:[1,0,1] neg_lo:[1,0,0] neg_hi:[1,0,0]
	v_pk_mul_f16 v21, 0x3aee, v21 op_sel_hi:[0,1]
	v_pk_fma_f16 v19, v48, 0.5, v19 op_sel_hi:[1,0,1] neg_lo:[1,0,0] neg_hi:[1,0,0]
	v_pk_add_f16 v42, v16, v20 op_sel:[0,1] op_sel_hi:[1,0]
	v_pk_add_f16 v16, v16, v20 op_sel:[0,1] op_sel_hi:[1,0] neg_lo:[0,1] neg_hi:[0,1]
	v_pk_fma_f16 v20, 0x3aee, v22, v18 op_sel:[0,0,1] op_sel_hi:[0,1,0]
	v_pk_fma_f16 v18, 0x3aee, v22, v18 op_sel:[0,0,1] op_sel_hi:[0,1,0] neg_lo:[0,1,0] neg_hi:[0,1,0]
	v_pk_add_f16 v41, v24, v26
	v_pk_add_f16 v22, v24, v26 neg_lo:[0,1] neg_hi:[0,1]
	v_pk_add_f16 v26, v17, v21 op_sel:[0,1] op_sel_hi:[1,0]
	v_pk_add_f16 v17, v17, v21 op_sel:[0,1] op_sel_hi:[1,0] neg_lo:[0,1] neg_hi:[0,1]
	v_pk_fma_f16 v21, 0x3aee, v23, v19 op_sel:[0,0,1] op_sel_hi:[0,1,0]
	v_pk_fma_f16 v19, 0x3aee, v23, v19 op_sel:[0,0,1] op_sel_hi:[0,1,0] neg_lo:[0,1,0] neg_hi:[0,1,0]
	v_lshrrev_b32_e32 v43, 16, v20
	v_bfi_b32 v20, 0xffff, v20, v18
	v_mul_f16_e32 v44, 0x3aee, v18
	v_lshrrev_b32_e32 v48, 16, v21
	v_bfi_b32 v21, 0xffff, v21, v19
	v_mul_f16_e32 v49, 0x3aee, v19
	v_pk_add_f16 v25, v45, v25
	v_pk_add_f16 v27, v46, v27
	v_fmac_f16_e32 v44, 0.5, v43
	v_mul_f16_e32 v43, 0xbaee, v43
	v_pk_mul_f16 v51, v20, 0.5 op_sel_hi:[1,0]
	v_fmac_f16_e32 v49, 0.5, v48
	v_mul_f16_e32 v48, 0xbaee, v48
	v_pk_mul_f16 v52, v21, 0.5 op_sel_hi:[1,0]
	v_pk_add_f16 v24, v25, v27
	v_pk_add_f16 v23, v25, v27 neg_lo:[0,1] neg_hi:[0,1]
	v_bfi_b32 v27, 0xffff, v16, v42
	v_fmac_f16_e32 v43, 0.5, v18
	v_pk_fma_f16 v18, 0xbaee3aee, v20, v51 op_sel:[0,0,1] op_sel_hi:[1,1,0] neg_lo:[0,0,1] neg_hi:[0,0,1]
	v_lshrrev_b32_e32 v25, 16, v16
	v_lshrrev_b32_e32 v46, 16, v17
	v_fmac_f16_e32 v48, 0.5, v19
	v_pk_fma_f16 v19, 0xbaee3aee, v21, v52 op_sel:[0,0,1] op_sel_hi:[1,1,0] neg_lo:[0,0,1] neg_hi:[0,0,1]
	v_lshrrev_b32_e32 v45, 16, v42
	v_bfi_b32 v47, 0xffff, v17, v26
	v_lshrrev_b32_e32 v50, 16, v26
	v_add_f16_e32 v53, v42, v44
	v_sub_f16_e32 v20, v42, v44
	v_add_f16_e32 v42, v26, v49
	v_sub_f16_e32 v21, v26, v49
	v_pk_add_f16 v26, v27, v18
	v_lshrrev_b32_e32 v27, 16, v18
	v_pack_b32_f16 v18, v43, v18
	v_add_f16_e32 v25, v25, v43
	v_add_f16_e32 v43, v46, v48
	v_lshrrev_b32_e32 v44, 16, v19
	v_pack_b32_f16 v46, v48, v19
	v_sub_f16_e32 v27, v45, v27
	v_pk_add_f16 v16, v16, v18 op_sel:[1,0] op_sel_hi:[0,1] neg_lo:[0,1] neg_hi:[0,1]
	v_pack_b32_f16 v25, v53, v25
	v_sub_f16_e32 v18, v50, v44
	v_pk_add_f16 v17, v17, v46 op_sel:[1,0] op_sel_hi:[0,1] neg_lo:[0,1] neg_hi:[0,1]
	v_pack_b32_f16 v42, v42, v43
	v_alignbit_b32 v27, v27, v16, 16
	v_pack_b32_f16 v16, v20, v16
	v_pk_add_f16 v19, v47, v19
	v_alignbit_b32 v18, v18, v17, 16
	v_pack_b32_f16 v17, v21, v17
	ds_store_2addr_b32 v33, v41, v25 offset1:1
	ds_store_2addr_b32 v33, v26, v22 offset0:2 offset1:3
	ds_store_2addr_b32 v33, v16, v27 offset0:4 offset1:5
	ds_store_2addr_b32 v38, v24, v42 offset1:1
	ds_store_2addr_b32 v39, v19, v23 offset1:1
	;; [unrolled: 1-line block ×3, first 2 shown]
	global_wb scope:SCOPE_SE
	s_wait_dscnt 0x0
	s_barrier_signal -1
	s_barrier_wait -1
	global_inv scope:SCOPE_SE
	s_clause 0x3
	global_load_b128 v[16:19], v34, s[8:9]
	global_load_b32 v38, v34, s[8:9] offset:16
	global_load_b128 v[20:23], v35, s[8:9]
	global_load_b32 v39, v35, s[8:9] offset:16
	v_mul_lo_u16 v24, v28, 57
	v_mul_u32_u24_e32 v25, 0xe38f, v30
	v_and_b32_e32 v26, 0xffff, v31
	v_mul_u32_u24_e32 v43, 0x90, v32
	s_delay_alu instid0(VALU_DEP_4) | instskip(NEXT) | instid1(VALU_DEP_4)
	v_lshrrev_b16 v40, 11, v24
	v_lshrrev_b32_e32 v41, 21, v25
	s_delay_alu instid0(VALU_DEP_4) | instskip(NEXT) | instid1(VALU_DEP_4)
	v_mul_u32_u24_e32 v42, 0x90, v26
	v_add3_u32 v37, 0, v43, v37
	s_delay_alu instid0(VALU_DEP_4) | instskip(NEXT) | instid1(VALU_DEP_4)
	v_mul_lo_u16 v24, v40, 36
	v_mul_lo_u16 v25, v41, 36
	s_delay_alu instid0(VALU_DEP_4) | instskip(NEXT) | instid1(VALU_DEP_3)
	v_add3_u32 v36, 0, v42, v36
	v_sub_nc_u16 v24, v3, v24
	s_delay_alu instid0(VALU_DEP_3) | instskip(NEXT) | instid1(VALU_DEP_2)
	v_sub_nc_u16 v27, v29, v25
	v_and_b32_e32 v44, 0xff, v24
	ds_load_2addr_b32 v[24:25], v0 offset1:216
	v_and_b32_e32 v45, 0xffff, v27
	ds_load_2addr_b32 v[26:27], v11 offset0:16 offset1:232
	ds_load_2addr_b32 v[28:29], v12 offset0:32 offset1:248
	;; [unrolled: 1-line block ×3, first 2 shown]
	ds_load_2addr_b32 v[32:33], v14 offset1:216
	ds_load_2addr_b32 v[34:35], v15 offset0:16 offset1:232
	global_wb scope:SCOPE_SE
	s_wait_loadcnt_dscnt 0x0
	v_mul_u32_u24_e32 v46, 5, v44
	s_barrier_signal -1
	v_mul_u32_u24_e32 v47, 5, v45
	s_barrier_wait -1
	global_inv scope:SCOPE_SE
	v_lshlrev_b32_e32 v42, 2, v46
	v_lshlrev_b32_e32 v43, 2, v47
	v_lshrrev_b32_e32 v53, 16, v26
	v_lshrrev_b32_e32 v54, 16, v28
	;; [unrolled: 1-line block ×22, first 2 shown]
	v_mul_f16_e32 v68, v58, v53
	v_mul_f16_e32 v58, v58, v26
	v_mul_f16_e32 v69, v59, v54
	v_mul_f16_e32 v59, v59, v28
	v_mul_f16_e32 v70, v60, v55
	v_mul_f16_e32 v60, v60, v30
	v_mul_f16_e32 v71, v61, v56
	v_mul_f16_e32 v61, v61, v32
	v_mul_f16_e32 v72, v62, v57
	v_mul_f16_e32 v62, v62, v34
	v_mul_f16_e32 v73, v48, v63
	v_mul_f16_e32 v63, v27, v63
	v_mul_f16_e32 v74, v49, v64
	v_mul_f16_e32 v64, v29, v64
	v_mul_f16_e32 v75, v50, v65
	v_mul_f16_e32 v65, v31, v65
	v_mul_f16_e32 v76, v51, v66
	v_mul_f16_e32 v66, v33, v66
	v_mul_f16_e32 v77, v52, v67
	v_mul_f16_e32 v67, v35, v67
	v_fma_f16 v26, v16, v26, -v68
	v_fmac_f16_e32 v58, v16, v53
	v_fma_f16 v16, v17, v28, -v69
	v_fmac_f16_e32 v59, v17, v54
	;; [unrolled: 2-line block ×10, first 2 shown]
	v_add_f16_e32 v29, v16, v18
	v_add_f16_e32 v32, v59, v61
	;; [unrolled: 1-line block ×11, first 2 shown]
	v_sub_f16_e32 v30, v59, v61
	v_sub_f16_e32 v16, v16, v18
	;; [unrolled: 1-line block ×4, first 2 shown]
	v_add_f16_e32 v48, v25, v20
	v_add_f16_e32 v51, v47, v64
	;; [unrolled: 1-line block ×4, first 2 shown]
	v_fma_f16 v24, -0.5, v29, v24
	v_fmac_f16_e32 v46, -0.5, v32
	v_fmac_f16_e32 v26, -0.5, v34
	;; [unrolled: 1-line block ×3, first 2 shown]
	v_add_f16_e32 v49, v20, v22
	v_sub_f16_e32 v20, v20, v22
	v_sub_f16_e32 v55, v65, v67
	;; [unrolled: 1-line block ×3, first 2 shown]
	v_add_f16_e32 v18, v28, v18
	v_add_f16_e32 v28, v31, v61
	v_add_f16_e32 v19, v33, v19
	v_add_f16_e32 v29, v38, v62
	v_fmac_f16_e32 v47, -0.5, v52
	v_fmac_f16_e32 v27, -0.5, v54
	;; [unrolled: 1-line block ×3, first 2 shown]
	v_add_f16_e32 v22, v48, v22
	v_add_f16_e32 v31, v51, v66
	;; [unrolled: 1-line block ×4, first 2 shown]
	v_fmamk_f16 v33, v30, 0x3aee, v24
	v_fmac_f16_e32 v24, 0xbaee, v30
	v_fmamk_f16 v30, v16, 0xbaee, v46
	v_fmac_f16_e32 v46, 0x3aee, v16
	v_fmamk_f16 v16, v35, 0x3aee, v26
	v_fmamk_f16 v34, v17, 0xbaee, v58
	v_fmac_f16_e32 v26, 0xbaee, v35
	v_fmac_f16_e32 v58, 0x3aee, v17
	v_sub_f16_e32 v50, v64, v66
	v_fmac_f16_e32 v25, -0.5, v49
	v_add_f16_e32 v17, v18, v19
	v_add_f16_e32 v35, v28, v29
	v_sub_f16_e32 v18, v18, v19
	v_sub_f16_e32 v19, v28, v29
	v_fmamk_f16 v29, v20, 0xbaee, v47
	v_fmac_f16_e32 v47, 0x3aee, v20
	v_fmamk_f16 v20, v55, 0x3aee, v27
	v_fmamk_f16 v38, v21, 0xbaee, v63
	v_fmac_f16_e32 v27, 0xbaee, v55
	v_fmac_f16_e32 v63, 0x3aee, v21
	v_add_f16_e32 v21, v22, v23
	v_add_f16_e32 v39, v31, v32
	v_sub_f16_e32 v22, v22, v23
	v_sub_f16_e32 v23, v31, v32
	v_mul_f16_e32 v31, 0x3aee, v34
	v_mul_f16_e32 v48, 0xbaee, v16
	v_mul_f16_e32 v32, -0.5, v26
	v_mul_f16_e32 v49, -0.5, v58
	v_fmamk_f16 v28, v50, 0x3aee, v25
	v_fmac_f16_e32 v25, 0xbaee, v50
	v_mul_f16_e32 v50, 0x3aee, v38
	v_mul_f16_e32 v52, 0xbaee, v20
	v_mul_f16_e32 v51, -0.5, v27
	v_mul_f16_e32 v53, -0.5, v63
	v_fmac_f16_e32 v31, 0.5, v16
	v_fmac_f16_e32 v48, 0.5, v34
	v_fmac_f16_e32 v32, 0x3aee, v58
	v_fmac_f16_e32 v49, 0xbaee, v26
	v_fmac_f16_e32 v50, 0.5, v20
	v_fmac_f16_e32 v52, 0.5, v38
	v_fmac_f16_e32 v51, 0x3aee, v63
	v_fmac_f16_e32 v53, 0xbaee, v27
	v_pack_b32_f16 v18, v18, v19
	v_pack_b32_f16 v19, v21, v39
	;; [unrolled: 1-line block ×3, first 2 shown]
	v_add_f16_e32 v16, v33, v31
	v_add_f16_e32 v22, v30, v48
	;; [unrolled: 1-line block ×4, first 2 shown]
	v_sub_f16_e32 v26, v33, v31
	v_sub_f16_e32 v24, v24, v32
	;; [unrolled: 1-line block ×4, first 2 shown]
	v_add_f16_e32 v31, v28, v50
	v_add_f16_e32 v33, v29, v52
	;; [unrolled: 1-line block ×4, first 2 shown]
	v_pack_b32_f16 v17, v17, v35
	v_sub_f16_e32 v28, v28, v50
	v_sub_f16_e32 v25, v25, v51
	;; [unrolled: 1-line block ×4, first 2 shown]
	v_pack_b32_f16 v16, v16, v22
	v_pack_b32_f16 v20, v20, v23
	;; [unrolled: 1-line block ×8, first 2 shown]
	ds_store_2addr_b32 v36, v17, v16 offset1:6
	ds_store_2addr_b32 v36, v20, v18 offset0:12 offset1:18
	ds_store_2addr_b32 v36, v22, v23 offset0:24 offset1:30
	ds_store_2addr_b32 v37, v19, v24 offset1:6
	ds_store_2addr_b32 v37, v26, v21 offset0:12 offset1:18
	ds_store_2addr_b32 v37, v27, v25 offset0:24 offset1:30
	global_wb scope:SCOPE_SE
	s_wait_dscnt 0x0
	s_barrier_signal -1
	s_barrier_wait -1
	global_inv scope:SCOPE_SE
	s_clause 0x3
	global_load_b128 v[16:19], v42, s[8:9] offset:120
	global_load_b32 v36, v42, s[8:9] offset:136
	global_load_b128 v[20:23], v43, s[8:9] offset:120
	global_load_b32 v37, v43, s[8:9] offset:136
	ds_load_2addr_b32 v[24:25], v0 offset1:216
	ds_load_2addr_b32 v[26:27], v11 offset0:16 offset1:232
	ds_load_2addr_b32 v[28:29], v12 offset0:32 offset1:248
	;; [unrolled: 1-line block ×3, first 2 shown]
	ds_load_2addr_b32 v[32:33], v14 offset1:216
	ds_load_2addr_b32 v[34:35], v15 offset0:16 offset1:232
	v_and_b32_e32 v39, 0xffff, v40
	v_mul_u32_u24_e32 v40, 0x360, v41
	v_lshlrev_b32_e32 v41, 2, v44
	v_lshlrev_b32_e32 v42, 2, v45
	v_mul_u32_u24_e32 v38, 5, v3
	v_mul_u32_u24_e32 v39, 0x360, v39
	global_wb scope:SCOPE_SE
	s_wait_loadcnt_dscnt 0x0
	s_barrier_signal -1
	v_add3_u32 v40, 0, v40, v42
	v_lshlrev_b32_e32 v38, 2, v38
	v_add3_u32 v39, 0, v39, v41
	s_barrier_wait -1
	global_inv scope:SCOPE_SE
	v_lshrrev_b32_e32 v48, 16, v26
	v_lshrrev_b32_e32 v49, 16, v28
	;; [unrolled: 1-line block ×22, first 2 shown]
	v_mul_f16_e32 v63, v53, v48
	v_mul_f16_e32 v53, v53, v26
	;; [unrolled: 1-line block ×20, first 2 shown]
	v_fma_f16 v26, v16, v26, -v63
	v_fmac_f16_e32 v53, v16, v48
	v_fma_f16 v16, v17, v28, -v64
	v_fmac_f16_e32 v54, v17, v49
	;; [unrolled: 2-line block ×10, first 2 shown]
	v_add_f16_e32 v29, v16, v18
	v_add_f16_e32 v32, v54, v56
	;; [unrolled: 1-line block ×11, first 2 shown]
	v_sub_f16_e32 v30, v54, v56
	v_sub_f16_e32 v16, v16, v18
	;; [unrolled: 1-line block ×4, first 2 shown]
	v_add_f16_e32 v43, v25, v20
	v_add_f16_e32 v46, v42, v59
	;; [unrolled: 1-line block ×4, first 2 shown]
	v_fma_f16 v24, -0.5, v29, v24
	v_fmac_f16_e32 v41, -0.5, v32
	v_fmac_f16_e32 v26, -0.5, v34
	;; [unrolled: 1-line block ×3, first 2 shown]
	v_add_f16_e32 v44, v20, v22
	v_sub_f16_e32 v20, v20, v22
	v_sub_f16_e32 v50, v60, v62
	;; [unrolled: 1-line block ×3, first 2 shown]
	v_add_f16_e32 v18, v28, v18
	v_add_f16_e32 v28, v31, v56
	;; [unrolled: 1-line block ×4, first 2 shown]
	v_fmac_f16_e32 v42, -0.5, v47
	v_fmac_f16_e32 v27, -0.5, v49
	;; [unrolled: 1-line block ×3, first 2 shown]
	v_add_f16_e32 v22, v43, v22
	v_add_f16_e32 v31, v46, v61
	;; [unrolled: 1-line block ×4, first 2 shown]
	v_fmamk_f16 v33, v30, 0x3aee, v24
	v_fmac_f16_e32 v24, 0xbaee, v30
	v_fmamk_f16 v30, v16, 0xbaee, v41
	v_fmac_f16_e32 v41, 0x3aee, v16
	v_fmamk_f16 v16, v35, 0x3aee, v26
	v_fmamk_f16 v34, v17, 0xbaee, v53
	v_fmac_f16_e32 v26, 0xbaee, v35
	v_fmac_f16_e32 v53, 0x3aee, v17
	v_sub_f16_e32 v45, v59, v61
	v_fmac_f16_e32 v25, -0.5, v44
	v_add_f16_e32 v17, v18, v19
	v_add_f16_e32 v35, v28, v29
	v_sub_f16_e32 v18, v18, v19
	v_sub_f16_e32 v19, v28, v29
	v_fmamk_f16 v29, v20, 0xbaee, v42
	v_fmac_f16_e32 v42, 0x3aee, v20
	v_fmamk_f16 v20, v50, 0x3aee, v27
	v_fmamk_f16 v36, v21, 0xbaee, v58
	v_fmac_f16_e32 v27, 0xbaee, v50
	v_fmac_f16_e32 v58, 0x3aee, v21
	v_add_f16_e32 v21, v22, v23
	v_add_f16_e32 v37, v31, v32
	v_sub_f16_e32 v22, v22, v23
	v_sub_f16_e32 v23, v31, v32
	v_mul_f16_e32 v31, 0x3aee, v34
	v_mul_f16_e32 v43, 0xbaee, v16
	v_mul_f16_e32 v32, -0.5, v26
	v_mul_f16_e32 v44, -0.5, v53
	v_fmamk_f16 v28, v45, 0x3aee, v25
	v_fmac_f16_e32 v25, 0xbaee, v45
	v_mul_f16_e32 v45, 0x3aee, v36
	v_mul_f16_e32 v47, 0xbaee, v20
	v_mul_f16_e32 v46, -0.5, v27
	v_mul_f16_e32 v48, -0.5, v58
	v_fmac_f16_e32 v31, 0.5, v16
	v_fmac_f16_e32 v43, 0.5, v34
	v_fmac_f16_e32 v32, 0x3aee, v53
	v_fmac_f16_e32 v44, 0xbaee, v26
	v_fmac_f16_e32 v45, 0.5, v20
	v_fmac_f16_e32 v47, 0.5, v36
	v_fmac_f16_e32 v46, 0x3aee, v58
	v_fmac_f16_e32 v48, 0xbaee, v27
	v_pack_b32_f16 v18, v18, v19
	v_pack_b32_f16 v19, v21, v37
	;; [unrolled: 1-line block ×3, first 2 shown]
	v_add_f16_e32 v16, v33, v31
	v_add_f16_e32 v22, v30, v43
	;; [unrolled: 1-line block ×4, first 2 shown]
	v_sub_f16_e32 v26, v33, v31
	v_sub_f16_e32 v24, v24, v32
	;; [unrolled: 1-line block ×4, first 2 shown]
	v_add_f16_e32 v31, v28, v45
	v_add_f16_e32 v33, v29, v47
	;; [unrolled: 1-line block ×4, first 2 shown]
	v_pack_b32_f16 v17, v17, v35
	v_sub_f16_e32 v28, v28, v45
	v_sub_f16_e32 v25, v25, v46
	;; [unrolled: 1-line block ×4, first 2 shown]
	v_pack_b32_f16 v16, v16, v22
	v_pack_b32_f16 v20, v20, v23
	;; [unrolled: 1-line block ×8, first 2 shown]
	ds_store_2addr_b32 v39, v17, v16 offset1:36
	ds_store_2addr_b32 v39, v20, v18 offset0:72 offset1:108
	ds_store_2addr_b32 v39, v22, v23 offset0:144 offset1:180
	ds_store_2addr_b32 v40, v19, v24 offset1:36
	ds_store_2addr_b32 v40, v26, v21 offset0:72 offset1:108
	ds_store_2addr_b32 v40, v27, v25 offset0:144 offset1:180
	global_wb scope:SCOPE_SE
	s_wait_dscnt 0x0
	s_barrier_signal -1
	s_barrier_wait -1
	global_inv scope:SCOPE_SE
	s_clause 0x1
	global_load_b128 v[16:19], v38, s[8:9] offset:840
	global_load_b32 v32, v38, s[8:9] offset:856
	ds_load_2addr_b32 v[20:21], v0 offset1:216
	ds_load_2addr_b32 v[22:23], v11 offset0:16 offset1:232
	ds_load_2addr_b32 v[24:25], v12 offset0:32 offset1:248
	;; [unrolled: 1-line block ×3, first 2 shown]
	ds_load_2addr_b32 v[28:29], v14 offset1:216
	ds_load_2addr_b32 v[30:31], v15 offset0:16 offset1:232
	global_wb scope:SCOPE_SE
	s_wait_loadcnt_dscnt 0x0
	s_barrier_signal -1
	s_barrier_wait -1
	global_inv scope:SCOPE_SE
	v_lshrrev_b32_e32 v33, 16, v20
	v_lshrrev_b32_e32 v35, 16, v23
	;; [unrolled: 1-line block ×17, first 2 shown]
	v_mul_f16_e32 v52, v46, v41
	v_mul_f16_e32 v53, v46, v24
	;; [unrolled: 1-line block ×20, first 2 shown]
	v_fma_f16 v24, v17, v24, -v52
	v_fmac_f16_e32 v53, v17, v41
	v_fma_f16 v26, v18, v26, -v54
	v_fmac_f16_e32 v55, v18, v42
	;; [unrolled: 2-line block ×10, first 2 shown]
	v_add_f16_e32 v27, v24, v28
	v_add_f16_e32 v32, v53, v57
	;; [unrolled: 1-line block ×5, first 2 shown]
	v_sub_f16_e32 v29, v53, v57
	v_add_f16_e32 v31, v33, v53
	v_add_f16_e32 v35, v22, v26
	;; [unrolled: 1-line block ×5, first 2 shown]
	v_sub_f16_e32 v52, v47, v49
	v_add_f16_e32 v53, v45, v47
	v_add_f16_e32 v47, v47, v49
	v_sub_f16_e32 v24, v24, v28
	v_sub_f16_e32 v37, v55, v59
	;; [unrolled: 1-line block ×3, first 2 shown]
	v_add_f16_e32 v40, v21, v16
	v_sub_f16_e32 v42, v46, v48
	v_add_f16_e32 v43, v34, v46
	v_add_f16_e32 v46, v23, v17
	v_fma_f16 v20, -0.5, v27, v20
	v_fmac_f16_e32 v33, -0.5, v32
	v_fmac_f16_e32 v22, -0.5, v36
	;; [unrolled: 1-line block ×3, first 2 shown]
	v_add_f16_e32 v41, v16, v18
	v_sub_f16_e32 v16, v16, v18
	v_sub_f16_e32 v17, v17, v19
	v_add_f16_e32 v25, v25, v28
	v_add_f16_e32 v27, v31, v57
	;; [unrolled: 1-line block ×4, first 2 shown]
	v_fmac_f16_e32 v34, -0.5, v44
	v_fmac_f16_e32 v23, -0.5, v50
	;; [unrolled: 1-line block ×3, first 2 shown]
	v_add_f16_e32 v18, v40, v18
	v_add_f16_e32 v31, v43, v48
	;; [unrolled: 1-line block ×4, first 2 shown]
	v_fmamk_f16 v35, v29, 0x3aee, v20
	v_fmac_f16_e32 v20, 0xbaee, v29
	v_fmamk_f16 v29, v24, 0xbaee, v33
	v_fmac_f16_e32 v33, 0x3aee, v24
	v_fmamk_f16 v24, v37, 0x3aee, v22
	v_fmamk_f16 v36, v26, 0xbaee, v51
	v_fmac_f16_e32 v22, 0xbaee, v37
	v_fmac_f16_e32 v51, 0x3aee, v26
	v_fmac_f16_e32 v21, -0.5, v41
	v_add_f16_e32 v37, v27, v30
	v_sub_f16_e32 v27, v27, v30
	v_fmamk_f16 v30, v16, 0xbaee, v34
	v_fmac_f16_e32 v34, 0x3aee, v16
	v_fmamk_f16 v16, v52, 0x3aee, v23
	v_fmamk_f16 v38, v17, 0xbaee, v45
	v_fmac_f16_e32 v23, 0xbaee, v52
	v_fmac_f16_e32 v45, 0x3aee, v17
	v_add_f16_e32 v17, v18, v19
	v_add_f16_e32 v39, v31, v32
	v_sub_f16_e32 v18, v18, v19
	v_sub_f16_e32 v19, v31, v32
	v_mul_f16_e32 v31, 0x3aee, v36
	v_mul_f16_e32 v40, 0xbaee, v24
	v_mul_f16_e32 v32, -0.5, v22
	v_mul_f16_e32 v41, -0.5, v51
	v_add_f16_e32 v26, v25, v28
	v_sub_f16_e32 v25, v25, v28
	v_fmamk_f16 v28, v42, 0x3aee, v21
	v_fmac_f16_e32 v21, 0xbaee, v42
	v_mul_f16_e32 v42, 0x3aee, v38
	v_mul_f16_e32 v44, 0xbaee, v16
	v_mul_f16_e32 v43, -0.5, v23
	v_mul_f16_e32 v46, -0.5, v45
	v_fmac_f16_e32 v31, 0.5, v24
	v_fmac_f16_e32 v40, 0.5, v36
	v_fmac_f16_e32 v32, 0x3aee, v51
	v_fmac_f16_e32 v41, 0xbaee, v22
	v_fmac_f16_e32 v42, 0.5, v16
	v_fmac_f16_e32 v44, 0.5, v38
	v_fmac_f16_e32 v43, 0x3aee, v45
	v_fmac_f16_e32 v46, 0xbaee, v23
	v_add_f16_e32 v16, v35, v31
	v_add_f16_e32 v22, v29, v40
	v_pack_b32_f16 v18, v18, v19
	v_add_f16_e32 v19, v20, v32
	v_add_f16_e32 v23, v33, v41
	v_pack_b32_f16 v25, v25, v27
	v_sub_f16_e32 v24, v35, v31
	v_sub_f16_e32 v20, v20, v32
	;; [unrolled: 1-line block ×4, first 2 shown]
	v_add_f16_e32 v31, v28, v42
	v_add_f16_e32 v33, v30, v44
	;; [unrolled: 1-line block ×4, first 2 shown]
	v_sub_f16_e32 v28, v28, v42
	v_sub_f16_e32 v30, v30, v44
	v_pack_b32_f16 v26, v26, v37
	v_sub_f16_e32 v21, v21, v43
	v_sub_f16_e32 v34, v34, v46
	v_pack_b32_f16 v16, v16, v22
	v_pack_b32_f16 v19, v19, v23
	;; [unrolled: 1-line block ×9, first 2 shown]
	ds_store_2addr_b32 v0, v26, v16 offset1:216
	ds_store_2addr_b32 v11, v19, v25 offset0:16 offset1:232
	ds_store_2addr_b32 v12, v22, v20 offset0:32 offset1:248
	;; [unrolled: 1-line block ×3, first 2 shown]
	ds_store_2addr_b32 v14, v24, v18 offset1:216
	ds_store_2addr_b32 v15, v27, v21 offset0:16 offset1:232
	global_wb scope:SCOPE_SE
	s_wait_dscnt 0x0
	s_barrier_signal -1
	s_barrier_wait -1
	global_inv scope:SCOPE_SE
	s_clause 0x5
	global_load_b32 v24, v[7:8], off offset:5160
	global_load_b32 v25, v[9:10], off offset:6024
	;; [unrolled: 1-line block ×6, first 2 shown]
	ds_load_2addr_b32 v[7:8], v13 offset0:16 offset1:232
	ds_load_2addr_b32 v[9:10], v14 offset1:216
	ds_load_2addr_b32 v[16:17], v15 offset0:16 offset1:232
	ds_load_2addr_b32 v[18:19], v0 offset1:216
	ds_load_2addr_b32 v[20:21], v11 offset0:16 offset1:232
	ds_load_2addr_b32 v[22:23], v12 offset0:32 offset1:248
	global_wb scope:SCOPE_SE
	s_wait_loadcnt_dscnt 0x0
	s_barrier_signal -1
	s_barrier_wait -1
	global_inv scope:SCOPE_SE
	v_pk_mul_f16 v30, v24, v7 op_sel:[0,1]
	v_pk_mul_f16 v31, v25, v8 op_sel:[0,1]
	;; [unrolled: 1-line block ×6, first 2 shown]
	v_pk_fma_f16 v36, v24, v7, v30 op_sel:[0,0,1] op_sel_hi:[1,1,0] neg_lo:[0,0,1] neg_hi:[0,0,1]
	v_pk_fma_f16 v7, v24, v7, v30 op_sel:[0,0,1] op_sel_hi:[1,0,0]
	v_pk_fma_f16 v24, v25, v8, v31 op_sel:[0,0,1] op_sel_hi:[1,1,0] neg_lo:[0,0,1] neg_hi:[0,0,1]
	v_pk_fma_f16 v8, v25, v8, v31 op_sel:[0,0,1] op_sel_hi:[1,0,0]
	;; [unrolled: 2-line block ×6, first 2 shown]
	v_bfi_b32 v7, 0xffff, v36, v7
	v_bfi_b32 v8, 0xffff, v24, v8
	;; [unrolled: 1-line block ×6, first 2 shown]
	v_pk_add_f16 v7, v18, v7 neg_lo:[0,1] neg_hi:[0,1]
	v_pk_add_f16 v8, v19, v8 neg_lo:[0,1] neg_hi:[0,1]
	;; [unrolled: 1-line block ×6, first 2 shown]
	v_pk_fma_f16 v18, v18, 2.0, v7 op_sel_hi:[1,0,1] neg_lo:[0,0,1] neg_hi:[0,0,1]
	v_pk_fma_f16 v19, v19, 2.0, v8 op_sel_hi:[1,0,1] neg_lo:[0,0,1] neg_hi:[0,0,1]
	;; [unrolled: 1-line block ×6, first 2 shown]
	ds_store_2addr_b32 v13, v7, v8 offset0:16 offset1:232
	ds_store_2addr_b32 v14, v9, v10 offset1:216
	ds_store_2addr_b32 v15, v16, v17 offset0:16 offset1:232
	ds_store_2addr_b32 v0, v18, v19 offset1:216
	ds_store_2addr_b32 v11, v20, v21 offset0:16 offset1:232
	ds_store_2addr_b32 v12, v22, v23 offset0:32 offset1:248
	global_wb scope:SCOPE_SE
	s_wait_dscnt 0x0
	s_barrier_signal -1
	s_barrier_wait -1
	global_inv scope:SCOPE_SE
	s_and_saveexec_b32 s0, vcc_lo
	s_cbranch_execz .LBB0_21
; %bb.20:
	v_mul_lo_u32 v0, s3, v5
	v_mul_lo_u32 v7, s2, v6
	v_mad_co_u64_u32 v[5:6], null, s2, v5, 0
	v_dual_mov_b32 v10, v4 :: v_dual_add_nc_u32 v9, 0xd8, v3
	v_lshl_add_u32 v35, v3, 2, 0
	v_dual_mov_b32 v12, v4 :: v_dual_add_nc_u32 v11, 0x1b0, v3
	v_mov_b32_e32 v16, v4
	v_add3_u32 v6, v6, v7, v0
	v_lshlrev_b64_e32 v[0:1], 2, v[1:2]
	v_lshlrev_b64_e32 v[7:8], 2, v[3:4]
	;; [unrolled: 1-line block ×3, first 2 shown]
	v_add_nc_u32_e32 v15, 0x680, v35
	v_lshlrev_b64_e32 v[5:6], 2, v[5:6]
	v_dual_mov_b32 v26, v4 :: v_dual_add_nc_u32 v17, 0x438, v3
	v_dual_mov_b32 v28, v4 :: v_dual_add_nc_u32 v21, 0x510, v3
	;; [unrolled: 1-line block ×3, first 2 shown]
	s_delay_alu instid0(VALU_DEP_4) | instskip(SKIP_3) | instid1(VALU_DEP_3)
	v_add_co_u32 v2, vcc_lo, s6, v5
	s_wait_alu 0xfffd
	v_add_co_ci_u32_e32 v5, vcc_lo, s7, v6, vcc_lo
	v_mov_b32_e32 v18, v4
	v_add_co_u32 v37, vcc_lo, v2, v0
	s_wait_alu 0xfffd
	s_delay_alu instid0(VALU_DEP_3) | instskip(SKIP_1) | instid1(VALU_DEP_3)
	v_add_co_ci_u32_e32 v38, vcc_lo, v5, v1, vcc_lo
	v_lshlrev_b64_e32 v[0:1], 2, v[11:12]
	v_add_co_u32 v5, vcc_lo, v37, v7
	s_wait_alu 0xfffd
	s_delay_alu instid0(VALU_DEP_3)
	v_add_co_ci_u32_e32 v6, vcc_lo, v38, v8, vcc_lo
	v_add_nc_u32_e32 v11, 0x288, v3
	v_add_co_u32 v7, vcc_lo, v37, v9
	s_wait_alu 0xfffd
	v_add_co_ci_u32_e32 v8, vcc_lo, v38, v10, vcc_lo
	ds_load_2addr_b32 v[9:10], v15 offset0:16 offset1:232
	v_dual_mov_b32 v22, v4 :: v_dual_add_nc_u32 v15, 0x360, v3
	v_lshlrev_b64_e32 v[11:12], 2, v[11:12]
	v_add_nc_u32_e32 v2, 0xd00, v35
	v_add_co_u32 v0, vcc_lo, v37, v0
	s_delay_alu instid0(VALU_DEP_4)
	v_lshlrev_b64_e32 v[15:16], 2, v[15:16]
	s_wait_alu 0xfffd
	v_add_co_ci_u32_e32 v1, vcc_lo, v38, v1, vcc_lo
	v_add_co_u32 v11, vcc_lo, v37, v11
	v_lshlrev_b64_e32 v[17:18], 2, v[17:18]
	ds_load_2addr_b32 v[19:20], v2 offset0:32 offset1:248
	v_add_nc_u32_e32 v2, 0x1400, v35
	s_wait_alu 0xfffd
	v_add_co_ci_u32_e32 v12, vcc_lo, v38, v12, vcc_lo
	v_add_co_u32 v15, vcc_lo, v37, v15
	v_lshlrev_b64_e32 v[21:22], 2, v[21:22]
	v_dual_mov_b32 v34, v4 :: v_dual_add_nc_u32 v27, 0x6c0, v3
	s_wait_alu 0xfffd
	v_add_co_ci_u32_e32 v16, vcc_lo, v38, v16, vcc_lo
	ds_load_2addr_b32 v[13:14], v35 offset1:216
	v_add_co_u32 v17, vcc_lo, v37, v17
	ds_load_2addr_b32 v[23:24], v2 offset0:16 offset1:232
	v_lshlrev_b64_e32 v[25:26], 2, v[25:26]
	v_add_nc_u32_e32 v2, 0x1b00, v35
	v_add_nc_u32_e32 v29, 0x798, v3
	s_wait_alu 0xfffd
	v_add_co_ci_u32_e32 v18, vcc_lo, v38, v18, vcc_lo
	v_add_co_u32 v21, vcc_lo, v37, v21
	v_lshlrev_b64_e32 v[27:28], 2, v[27:28]
	v_add_nc_u32_e32 v33, 0x870, v3
	s_wait_alu 0xfffd
	v_add_co_ci_u32_e32 v22, vcc_lo, v38, v22, vcc_lo
	ds_load_2addr_b32 v[31:32], v2 offset1:216
	v_add_nc_u32_e32 v2, 0x2180, v35
	v_add_co_u32 v25, vcc_lo, v37, v25
	v_lshlrev_b64_e32 v[29:30], 2, v[29:30]
	v_add_nc_u32_e32 v3, 0x948, v3
	s_wait_alu 0xfffd
	v_add_co_ci_u32_e32 v26, vcc_lo, v38, v26, vcc_lo
	v_add_co_u32 v27, vcc_lo, v37, v27
	v_lshlrev_b64_e32 v[33:34], 2, v[33:34]
	ds_load_2addr_b32 v[35:36], v2 offset0:16 offset1:232
	s_wait_alu 0xfffd
	v_add_co_ci_u32_e32 v28, vcc_lo, v38, v28, vcc_lo
	v_add_co_u32 v29, vcc_lo, v37, v29
	v_lshlrev_b64_e32 v[2:3], 2, v[3:4]
	s_wait_alu 0xfffd
	v_add_co_ci_u32_e32 v30, vcc_lo, v38, v30, vcc_lo
	v_add_co_u32 v33, vcc_lo, v37, v33
	s_wait_alu 0xfffd
	v_add_co_ci_u32_e32 v34, vcc_lo, v38, v34, vcc_lo
	v_add_co_u32 v2, vcc_lo, v37, v2
	s_wait_alu 0xfffd
	v_add_co_ci_u32_e32 v3, vcc_lo, v38, v3, vcc_lo
	s_wait_dscnt 0x3
	s_clause 0x5
	global_store_b32 v[5:6], v13, off
	global_store_b32 v[7:8], v14, off
	;; [unrolled: 1-line block ×6, first 2 shown]
	s_wait_dscnt 0x2
	s_clause 0x1
	global_store_b32 v[21:22], v23, off
	global_store_b32 v[25:26], v24, off
	s_wait_dscnt 0x1
	s_clause 0x1
	global_store_b32 v[27:28], v31, off
	global_store_b32 v[29:30], v32, off
	;; [unrolled: 4-line block ×3, first 2 shown]
.LBB0_21:
	s_nop 0
	s_sendmsg sendmsg(MSG_DEALLOC_VGPRS)
	s_endpgm
	.section	.rodata,"a",@progbits
	.p2align	6, 0x0
	.amdhsa_kernel fft_rtc_fwd_len2592_factors_6_6_6_6_2_wgs_216_tpt_216_halfLds_half_op_CI_CI_unitstride_sbrr_C2R_dirReg
		.amdhsa_group_segment_fixed_size 0
		.amdhsa_private_segment_fixed_size 0
		.amdhsa_kernarg_size 104
		.amdhsa_user_sgpr_count 2
		.amdhsa_user_sgpr_dispatch_ptr 0
		.amdhsa_user_sgpr_queue_ptr 0
		.amdhsa_user_sgpr_kernarg_segment_ptr 1
		.amdhsa_user_sgpr_dispatch_id 0
		.amdhsa_user_sgpr_private_segment_size 0
		.amdhsa_wavefront_size32 1
		.amdhsa_uses_dynamic_stack 0
		.amdhsa_enable_private_segment 0
		.amdhsa_system_sgpr_workgroup_id_x 1
		.amdhsa_system_sgpr_workgroup_id_y 0
		.amdhsa_system_sgpr_workgroup_id_z 0
		.amdhsa_system_sgpr_workgroup_info 0
		.amdhsa_system_vgpr_workitem_id 0
		.amdhsa_next_free_vgpr 78
		.amdhsa_next_free_sgpr 39
		.amdhsa_reserve_vcc 1
		.amdhsa_float_round_mode_32 0
		.amdhsa_float_round_mode_16_64 0
		.amdhsa_float_denorm_mode_32 3
		.amdhsa_float_denorm_mode_16_64 3
		.amdhsa_fp16_overflow 0
		.amdhsa_workgroup_processor_mode 1
		.amdhsa_memory_ordered 1
		.amdhsa_forward_progress 0
		.amdhsa_round_robin_scheduling 0
		.amdhsa_exception_fp_ieee_invalid_op 0
		.amdhsa_exception_fp_denorm_src 0
		.amdhsa_exception_fp_ieee_div_zero 0
		.amdhsa_exception_fp_ieee_overflow 0
		.amdhsa_exception_fp_ieee_underflow 0
		.amdhsa_exception_fp_ieee_inexact 0
		.amdhsa_exception_int_div_zero 0
	.end_amdhsa_kernel
	.text
.Lfunc_end0:
	.size	fft_rtc_fwd_len2592_factors_6_6_6_6_2_wgs_216_tpt_216_halfLds_half_op_CI_CI_unitstride_sbrr_C2R_dirReg, .Lfunc_end0-fft_rtc_fwd_len2592_factors_6_6_6_6_2_wgs_216_tpt_216_halfLds_half_op_CI_CI_unitstride_sbrr_C2R_dirReg
                                        ; -- End function
	.section	.AMDGPU.csdata,"",@progbits
; Kernel info:
; codeLenInByte = 8900
; NumSgprs: 41
; NumVgprs: 78
; ScratchSize: 0
; MemoryBound: 0
; FloatMode: 240
; IeeeMode: 1
; LDSByteSize: 0 bytes/workgroup (compile time only)
; SGPRBlocks: 5
; VGPRBlocks: 9
; NumSGPRsForWavesPerEU: 41
; NumVGPRsForWavesPerEU: 78
; Occupancy: 16
; WaveLimiterHint : 1
; COMPUTE_PGM_RSRC2:SCRATCH_EN: 0
; COMPUTE_PGM_RSRC2:USER_SGPR: 2
; COMPUTE_PGM_RSRC2:TRAP_HANDLER: 0
; COMPUTE_PGM_RSRC2:TGID_X_EN: 1
; COMPUTE_PGM_RSRC2:TGID_Y_EN: 0
; COMPUTE_PGM_RSRC2:TGID_Z_EN: 0
; COMPUTE_PGM_RSRC2:TIDIG_COMP_CNT: 0
	.text
	.p2alignl 7, 3214868480
	.fill 96, 4, 3214868480
	.type	__hip_cuid_c7f448c0133cfda9,@object ; @__hip_cuid_c7f448c0133cfda9
	.section	.bss,"aw",@nobits
	.globl	__hip_cuid_c7f448c0133cfda9
__hip_cuid_c7f448c0133cfda9:
	.byte	0                               ; 0x0
	.size	__hip_cuid_c7f448c0133cfda9, 1

	.ident	"AMD clang version 19.0.0git (https://github.com/RadeonOpenCompute/llvm-project roc-6.4.0 25133 c7fe45cf4b819c5991fe208aaa96edf142730f1d)"
	.section	".note.GNU-stack","",@progbits
	.addrsig
	.addrsig_sym __hip_cuid_c7f448c0133cfda9
	.amdgpu_metadata
---
amdhsa.kernels:
  - .args:
      - .actual_access:  read_only
        .address_space:  global
        .offset:         0
        .size:           8
        .value_kind:     global_buffer
      - .offset:         8
        .size:           8
        .value_kind:     by_value
      - .actual_access:  read_only
        .address_space:  global
        .offset:         16
        .size:           8
        .value_kind:     global_buffer
      - .actual_access:  read_only
        .address_space:  global
        .offset:         24
        .size:           8
        .value_kind:     global_buffer
      - .actual_access:  read_only
        .address_space:  global
        .offset:         32
        .size:           8
        .value_kind:     global_buffer
      - .offset:         40
        .size:           8
        .value_kind:     by_value
      - .actual_access:  read_only
        .address_space:  global
        .offset:         48
        .size:           8
        .value_kind:     global_buffer
      - .actual_access:  read_only
        .address_space:  global
        .offset:         56
        .size:           8
        .value_kind:     global_buffer
      - .offset:         64
        .size:           4
        .value_kind:     by_value
      - .actual_access:  read_only
        .address_space:  global
        .offset:         72
        .size:           8
        .value_kind:     global_buffer
      - .actual_access:  read_only
        .address_space:  global
        .offset:         80
        .size:           8
        .value_kind:     global_buffer
      - .actual_access:  read_only
        .address_space:  global
        .offset:         88
        .size:           8
        .value_kind:     global_buffer
      - .actual_access:  write_only
        .address_space:  global
        .offset:         96
        .size:           8
        .value_kind:     global_buffer
    .group_segment_fixed_size: 0
    .kernarg_segment_align: 8
    .kernarg_segment_size: 104
    .language:       OpenCL C
    .language_version:
      - 2
      - 0
    .max_flat_workgroup_size: 216
    .name:           fft_rtc_fwd_len2592_factors_6_6_6_6_2_wgs_216_tpt_216_halfLds_half_op_CI_CI_unitstride_sbrr_C2R_dirReg
    .private_segment_fixed_size: 0
    .sgpr_count:     41
    .sgpr_spill_count: 0
    .symbol:         fft_rtc_fwd_len2592_factors_6_6_6_6_2_wgs_216_tpt_216_halfLds_half_op_CI_CI_unitstride_sbrr_C2R_dirReg.kd
    .uniform_work_group_size: 1
    .uses_dynamic_stack: false
    .vgpr_count:     78
    .vgpr_spill_count: 0
    .wavefront_size: 32
    .workgroup_processor_mode: 1
amdhsa.target:   amdgcn-amd-amdhsa--gfx1201
amdhsa.version:
  - 1
  - 2
...

	.end_amdgpu_metadata
